;; amdgpu-corpus repo=ROCm/aiter kind=compiled arch=gfx906 opt=O3
	.amdgcn_target "amdgcn-amd-amdhsa--gfx906"
	.amdhsa_code_object_version 6
	.section	.text._ZN12_GLOBAL__N_112finfo_kernelEPf,"axG",@progbits,_ZN12_GLOBAL__N_112finfo_kernelEPf,comdat
	.globl	_ZN12_GLOBAL__N_112finfo_kernelEPf ; -- Begin function _ZN12_GLOBAL__N_112finfo_kernelEPf
	.p2align	8
	.type	_ZN12_GLOBAL__N_112finfo_kernelEPf,@function
_ZN12_GLOBAL__N_112finfo_kernelEPf:     ; @_ZN12_GLOBAL__N_112finfo_kernelEPf
; %bb.0:
	v_cmp_eq_u32_e32 vcc, 0, v0
	s_and_saveexec_b64 s[0:1], vcc
	s_cbranch_execz .LBB0_2
; %bb.1:
	s_getpc_b64 s[2:3]
	s_add_u32 s2, s2, _ZN4opus5finfoIfE4bitsE@rel32@lo+4
	s_addc_u32 s3, s3, _ZN4opus5finfoIfE4bitsE@rel32@hi+12
	s_load_dword s2, s[2:3], 0x0
	v_mov_b32_e32 v11, 0
	s_load_dwordx2 s[0:1], s[4:5], 0x0
	v_bfrev_b32_e32 v0, 44
	v_mov_b32_e32 v1, 0xff7fffff
	s_waitcnt lgkmcnt(0)
	v_mov_b32_e32 v3, s2
	s_getpc_b64 s[2:3]
	s_add_u32 s2, s2, _ZN4opus5finfoIDhE4bitsE@rel32@lo+4
	s_addc_u32 s3, s3, _ZN4opus5finfoIDhE4bitsE@rel32@hi+12
	s_load_dword s2, s[2:3], 0x0
	global_store_dword v11, v0, s[0:1]
	v_mov_b32_e32 v0, 0x7f7fffff
	v_mov_b32_e32 v2, 0x800000
	global_store_dwordx4 v11, v[0:3], s[0:1] offset:4
	s_waitcnt lgkmcnt(0)
	v_mov_b32_e32 v7, s2
	s_getpc_b64 s[2:3]
	s_add_u32 s2, s2, _ZN4opus5finfoIDF16bE4bitsE@rel32@lo+4
	s_addc_u32 s3, s3, _ZN4opus5finfoIDF16bE4bitsE@rel32@hi+12
	s_load_dword s2, s[2:3], 0x0
	v_mov_b32_e32 v3, 0x3a800000
	v_mov_b32_e32 v4, 0x477fe000
	;; [unrolled: 1-line block ×4, first 2 shown]
	global_store_dwordx4 v11, v[3:6], s[0:1] offset:20
	v_mov_b32_e32 v0, 0xc3e00000
	s_waitcnt lgkmcnt(0)
	v_mov_b32_e32 v3, s2
	s_getpc_b64 s[2:3]
	s_add_u32 s2, s2, _ZN4opus5finfoIDB8_E4bitsE@rel32@lo+4
	s_addc_u32 s3, s3, _ZN4opus5finfoIDB8_E4bitsE@rel32@hi+12
	s_load_dword s2, s[2:3], 0x0
	v_mov_b32_e32 v4, 0x3e000000
	v_mov_b32_e32 v5, 0x43e00000
	global_store_dwordx4 v11, v[2:5], s[0:1] offset:52
	v_mov_b32_e32 v1, 0x3c800000
	s_waitcnt lgkmcnt(0)
	v_mov_b32_e32 v2, s2
	s_getpc_b64 s[2:3]
	s_add_u32 s2, s2, _ZN4opus5finfoIDU8_E4bitsE@rel32@lo+4
	s_addc_u32 s3, s3, _ZN4opus5finfoIDU8_E4bitsE@rel32@hi+12
	s_load_dword s2, s[2:3], 0x0
	v_mov_b32_e32 v3, 0x3e800000
	global_store_dwordx4 v11, v[0:3], s[0:1] offset:68
	v_mov_b32_e32 v5, 0x400000
	v_mov_b32_e32 v0, 0x47600000
	s_waitcnt lgkmcnt(0)
	v_mov_b32_e32 v3, s2
	s_getpc_b64 s[2:3]
	s_add_u32 s2, s2, _ZN4opus5finfoINS_5fp4_tEE4bitsE@rel32@lo+4
	s_addc_u32 s3, s3, _ZN4opus5finfoINS_5fp4_tEE4bitsE@rel32@hi+12
	s_load_dword s2, s[2:3], 0x0
	v_mov_b32_e32 v1, 0xc7600000
	v_mov_b32_e32 v2, v6
	global_store_dwordx4 v11, v[0:3], s[0:1] offset:84
	v_bfrev_b32_e32 v8, 60
	v_mov_b32_e32 v0, 0.5
	v_mov_b32_e32 v1, 0x40c00000
	v_mov_b32_e32 v2, 0xc0c00000
	v_mov_b32_e32 v3, 1.0
	global_store_dwordx4 v11, v[0:3], s[0:1] offset:100
	v_mov_b32_e32 v9, 0x7f7f0000
	s_waitcnt lgkmcnt(0)
	v_mov_b32_e32 v2, s2
	s_getpc_b64 s[2:3]
	s_add_u32 s2, s2, _ZN4opus5finfoINS_6e8m0_tEE4bitsE@rel32@lo+4
	s_addc_u32 s3, s3, _ZN4opus5finfoINS_6e8m0_tEE4bitsE@rel32@hi+12
	s_load_dword s2, s[2:3], 0x0
	v_mov_b32_e32 v10, 0xff7f0000
	v_mov_b32_e32 v4, 0x7f000000
	;; [unrolled: 1-line block ×3, first 2 shown]
	global_store_dwordx4 v11, v[7:10], s[0:1] offset:36
	s_waitcnt lgkmcnt(0)
	v_mov_b32_e32 v1, s2
	global_store_dwordx4 v11, v[2:5], s[0:1] offset:116
	global_store_dwordx2 v11, v[0:1], s[0:1] offset:132
.LBB0_2:
	s_endpgm
	.section	.rodata,"a",@progbits
	.p2align	6, 0x0
	.amdhsa_kernel _ZN12_GLOBAL__N_112finfo_kernelEPf
		.amdhsa_group_segment_fixed_size 0
		.amdhsa_private_segment_fixed_size 0
		.amdhsa_kernarg_size 8
		.amdhsa_user_sgpr_count 6
		.amdhsa_user_sgpr_private_segment_buffer 1
		.amdhsa_user_sgpr_dispatch_ptr 0
		.amdhsa_user_sgpr_queue_ptr 0
		.amdhsa_user_sgpr_kernarg_segment_ptr 1
		.amdhsa_user_sgpr_dispatch_id 0
		.amdhsa_user_sgpr_flat_scratch_init 0
		.amdhsa_user_sgpr_private_segment_size 0
		.amdhsa_uses_dynamic_stack 0
		.amdhsa_system_sgpr_private_segment_wavefront_offset 0
		.amdhsa_system_sgpr_workgroup_id_x 1
		.amdhsa_system_sgpr_workgroup_id_y 0
		.amdhsa_system_sgpr_workgroup_id_z 0
		.amdhsa_system_sgpr_workgroup_info 0
		.amdhsa_system_vgpr_workitem_id 0
		.amdhsa_next_free_vgpr 12
		.amdhsa_next_free_sgpr 6
		.amdhsa_reserve_vcc 1
		.amdhsa_reserve_flat_scratch 0
		.amdhsa_float_round_mode_32 0
		.amdhsa_float_round_mode_16_64 0
		.amdhsa_float_denorm_mode_32 3
		.amdhsa_float_denorm_mode_16_64 3
		.amdhsa_dx10_clamp 1
		.amdhsa_ieee_mode 1
		.amdhsa_fp16_overflow 0
		.amdhsa_exception_fp_ieee_invalid_op 0
		.amdhsa_exception_fp_denorm_src 0
		.amdhsa_exception_fp_ieee_div_zero 0
		.amdhsa_exception_fp_ieee_overflow 0
		.amdhsa_exception_fp_ieee_underflow 0
		.amdhsa_exception_fp_ieee_inexact 0
		.amdhsa_exception_int_div_zero 0
	.end_amdhsa_kernel
	.section	.text._ZN12_GLOBAL__N_112finfo_kernelEPf,"axG",@progbits,_ZN12_GLOBAL__N_112finfo_kernelEPf,comdat
.Lfunc_end0:
	.size	_ZN12_GLOBAL__N_112finfo_kernelEPf, .Lfunc_end0-_ZN12_GLOBAL__N_112finfo_kernelEPf
                                        ; -- End function
	.set _ZN12_GLOBAL__N_112finfo_kernelEPf.num_vgpr, 12
	.set _ZN12_GLOBAL__N_112finfo_kernelEPf.num_agpr, 0
	.set _ZN12_GLOBAL__N_112finfo_kernelEPf.numbered_sgpr, 6
	.set _ZN12_GLOBAL__N_112finfo_kernelEPf.num_named_barrier, 0
	.set _ZN12_GLOBAL__N_112finfo_kernelEPf.private_seg_size, 0
	.set _ZN12_GLOBAL__N_112finfo_kernelEPf.uses_vcc, 1
	.set _ZN12_GLOBAL__N_112finfo_kernelEPf.uses_flat_scratch, 0
	.set _ZN12_GLOBAL__N_112finfo_kernelEPf.has_dyn_sized_stack, 0
	.set _ZN12_GLOBAL__N_112finfo_kernelEPf.has_recursion, 0
	.set _ZN12_GLOBAL__N_112finfo_kernelEPf.has_indirect_call, 0
	.section	.AMDGPU.csdata,"",@progbits
; Kernel info:
; codeLenInByte = 544
; TotalNumSgprs: 10
; NumVgprs: 12
; ScratchSize: 0
; MemoryBound: 1
; FloatMode: 240
; IeeeMode: 1
; LDSByteSize: 0 bytes/workgroup (compile time only)
; SGPRBlocks: 1
; VGPRBlocks: 2
; NumSGPRsForWavesPerEU: 10
; NumVGPRsForWavesPerEU: 12
; Occupancy: 10
; WaveLimiterHint : 1
; COMPUTE_PGM_RSRC2:SCRATCH_EN: 0
; COMPUTE_PGM_RSRC2:USER_SGPR: 6
; COMPUTE_PGM_RSRC2:TRAP_HANDLER: 0
; COMPUTE_PGM_RSRC2:TGID_X_EN: 1
; COMPUTE_PGM_RSRC2:TGID_Y_EN: 0
; COMPUTE_PGM_RSRC2:TGID_Z_EN: 0
; COMPUTE_PGM_RSRC2:TIDIG_COMP_CNT: 0
	.section	.AMDGPU.gpr_maximums,"",@progbits
	.set amdgpu.max_num_vgpr, 0
	.set amdgpu.max_num_agpr, 0
	.set amdgpu.max_num_sgpr, 0
	.section	.AMDGPU.csdata,"",@progbits
	.protected	_ZN4opus5finfoIfE4bitsE ; @_ZN4opus5finfoIfE4bitsE
	.type	_ZN4opus5finfoIfE4bitsE,@object
	.section	.rodata._ZN4opus5finfoIfE4bitsE,"aG",@progbits,_ZN4opus5finfoIfE4bitsE,comdat
	.weak	_ZN4opus5finfoIfE4bitsE
	.p2align	2, 0x0
_ZN4opus5finfoIfE4bitsE:
	.long	32                              ; 0x20
	.size	_ZN4opus5finfoIfE4bitsE, 4

	.protected	_ZN4opus5finfoIDhE4bitsE ; @_ZN4opus5finfoIDhE4bitsE
	.type	_ZN4opus5finfoIDhE4bitsE,@object
	.section	.rodata._ZN4opus5finfoIDhE4bitsE,"aG",@progbits,_ZN4opus5finfoIDhE4bitsE,comdat
	.weak	_ZN4opus5finfoIDhE4bitsE
	.p2align	2, 0x0
_ZN4opus5finfoIDhE4bitsE:
	.long	16                              ; 0x10
	.size	_ZN4opus5finfoIDhE4bitsE, 4

	.protected	_ZN4opus5finfoIDF16bE4bitsE ; @_ZN4opus5finfoIDF16bE4bitsE
	.type	_ZN4opus5finfoIDF16bE4bitsE,@object
	.section	.rodata._ZN4opus5finfoIDF16bE4bitsE,"aG",@progbits,_ZN4opus5finfoIDF16bE4bitsE,comdat
	.weak	_ZN4opus5finfoIDF16bE4bitsE
	.p2align	2, 0x0
_ZN4opus5finfoIDF16bE4bitsE:
	.long	16                              ; 0x10
	.size	_ZN4opus5finfoIDF16bE4bitsE, 4

	.protected	_ZN4opus5finfoIDB8_E4bitsE ; @_ZN4opus5finfoIDB8_E4bitsE
	.type	_ZN4opus5finfoIDB8_E4bitsE,@object
	.section	.rodata._ZN4opus5finfoIDB8_E4bitsE,"aG",@progbits,_ZN4opus5finfoIDB8_E4bitsE,comdat
	.weak	_ZN4opus5finfoIDB8_E4bitsE
	.p2align	2, 0x0
_ZN4opus5finfoIDB8_E4bitsE:
	.long	8                               ; 0x8
	.size	_ZN4opus5finfoIDB8_E4bitsE, 4

	.protected	_ZN4opus5finfoIDU8_E4bitsE ; @_ZN4opus5finfoIDU8_E4bitsE
	.type	_ZN4opus5finfoIDU8_E4bitsE,@object
	.section	.rodata._ZN4opus5finfoIDU8_E4bitsE,"aG",@progbits,_ZN4opus5finfoIDU8_E4bitsE,comdat
	.weak	_ZN4opus5finfoIDU8_E4bitsE
	.p2align	2, 0x0
_ZN4opus5finfoIDU8_E4bitsE:
	.long	8                               ; 0x8
	.size	_ZN4opus5finfoIDU8_E4bitsE, 4

	.protected	_ZN4opus5finfoINS_5fp4_tEE4bitsE ; @_ZN4opus5finfoINS_5fp4_tEE4bitsE
	.type	_ZN4opus5finfoINS_5fp4_tEE4bitsE,@object
	.section	.rodata._ZN4opus5finfoINS_5fp4_tEE4bitsE,"aG",@progbits,_ZN4opus5finfoINS_5fp4_tEE4bitsE,comdat
	.weak	_ZN4opus5finfoINS_5fp4_tEE4bitsE
	.p2align	2, 0x0
_ZN4opus5finfoINS_5fp4_tEE4bitsE:
	.long	4                               ; 0x4
	.size	_ZN4opus5finfoINS_5fp4_tEE4bitsE, 4

	.protected	_ZN4opus5finfoINS_6e8m0_tEE4bitsE ; @_ZN4opus5finfoINS_6e8m0_tEE4bitsE
	.type	_ZN4opus5finfoINS_6e8m0_tEE4bitsE,@object
	.section	.rodata._ZN4opus5finfoINS_6e8m0_tEE4bitsE,"aG",@progbits,_ZN4opus5finfoINS_6e8m0_tEE4bitsE,comdat
	.weak	_ZN4opus5finfoINS_6e8m0_tEE4bitsE
	.p2align	2, 0x0
_ZN4opus5finfoINS_6e8m0_tEE4bitsE:
	.long	8                               ; 0x8
	.size	_ZN4opus5finfoINS_6e8m0_tEE4bitsE, 4

	.type	__hip_cuid_7509c928972b16f4,@object ; @__hip_cuid_7509c928972b16f4
	.section	.bss,"aw",@nobits
	.globl	__hip_cuid_7509c928972b16f4
__hip_cuid_7509c928972b16f4:
	.byte	0                               ; 0x0
	.size	__hip_cuid_7509c928972b16f4, 1

	.ident	"AMD clang version 22.0.0git (https://github.com/RadeonOpenCompute/llvm-project roc-7.2.4 26084 f58b06dce1f9c15707c5f808fd002e18c2accf7e)"
	.section	".note.GNU-stack","",@progbits
	.addrsig
	.addrsig_sym __hip_cuid_7509c928972b16f4
	.amdgpu_metadata
---
amdhsa.kernels:
  - .args:
      - .address_space:  global
        .offset:         0
        .size:           8
        .value_kind:     global_buffer
    .group_segment_fixed_size: 0
    .kernarg_segment_align: 8
    .kernarg_segment_size: 8
    .language:       OpenCL C
    .language_version:
      - 2
      - 0
    .max_flat_workgroup_size: 1024
    .name:           _ZN12_GLOBAL__N_112finfo_kernelEPf
    .private_segment_fixed_size: 0
    .sgpr_count:     10
    .sgpr_spill_count: 0
    .symbol:         _ZN12_GLOBAL__N_112finfo_kernelEPf.kd
    .uniform_work_group_size: 1
    .uses_dynamic_stack: false
    .vgpr_count:     12
    .vgpr_spill_count: 0
    .wavefront_size: 64
amdhsa.target:   amdgcn-amd-amdhsa--gfx906
amdhsa.version:
  - 1
  - 2
...

	.end_amdgpu_metadata
